;; amdgpu-corpus repo=ROCm/rocFFT kind=compiled arch=gfx906 opt=O3
	.text
	.amdgcn_target "amdgcn-amd-amdhsa--gfx906"
	.amdhsa_code_object_version 6
	.protected	fft_rtc_fwd_len1350_factors_5_10_3_3_3_wgs_135_tpt_135_halfLds_sp_op_CI_CI_unitstride_sbrr_dirReg ; -- Begin function fft_rtc_fwd_len1350_factors_5_10_3_3_3_wgs_135_tpt_135_halfLds_sp_op_CI_CI_unitstride_sbrr_dirReg
	.globl	fft_rtc_fwd_len1350_factors_5_10_3_3_3_wgs_135_tpt_135_halfLds_sp_op_CI_CI_unitstride_sbrr_dirReg
	.p2align	8
	.type	fft_rtc_fwd_len1350_factors_5_10_3_3_3_wgs_135_tpt_135_halfLds_sp_op_CI_CI_unitstride_sbrr_dirReg,@function
fft_rtc_fwd_len1350_factors_5_10_3_3_3_wgs_135_tpt_135_halfLds_sp_op_CI_CI_unitstride_sbrr_dirReg: ; @fft_rtc_fwd_len1350_factors_5_10_3_3_3_wgs_135_tpt_135_halfLds_sp_op_CI_CI_unitstride_sbrr_dirReg
; %bb.0:
	s_load_dwordx4 s[12:15], s[4:5], 0x58
	s_load_dwordx4 s[8:11], s[4:5], 0x0
	;; [unrolled: 1-line block ×3, first 2 shown]
	v_mul_u32_u24_e32 v1, 0x1e6, v0
	v_mov_b32_e32 v5, 0
	v_mov_b32_e32 v9, 0
	s_waitcnt lgkmcnt(0)
	v_cmp_lt_u64_e64 s[0:1], s[10:11], 2
	v_add_u32_sdwa v7, s6, v1 dst_sel:DWORD dst_unused:UNUSED_PAD src0_sel:DWORD src1_sel:WORD_1
	v_mov_b32_e32 v8, v5
	s_and_b64 vcc, exec, s[0:1]
	v_mov_b32_e32 v10, 0
	s_cbranch_vccnz .LBB0_8
; %bb.1:
	s_load_dwordx2 s[0:1], s[4:5], 0x10
	s_add_u32 s2, s18, 8
	s_addc_u32 s3, s19, 0
	s_add_u32 s6, s16, 8
	s_addc_u32 s7, s17, 0
	v_mov_b32_e32 v9, 0
	s_waitcnt lgkmcnt(0)
	s_add_u32 s20, s0, 8
	v_mov_b32_e32 v10, 0
	v_mov_b32_e32 v1, v9
	s_addc_u32 s21, s1, 0
	s_mov_b64 s[22:23], 1
	v_mov_b32_e32 v2, v10
.LBB0_2:                                ; =>This Inner Loop Header: Depth=1
	s_load_dwordx2 s[24:25], s[20:21], 0x0
                                        ; implicit-def: $vgpr3_vgpr4
	s_waitcnt lgkmcnt(0)
	v_or_b32_e32 v6, s25, v8
	v_cmp_ne_u64_e32 vcc, 0, v[5:6]
	s_and_saveexec_b64 s[0:1], vcc
	s_xor_b64 s[26:27], exec, s[0:1]
	s_cbranch_execz .LBB0_4
; %bb.3:                                ;   in Loop: Header=BB0_2 Depth=1
	v_cvt_f32_u32_e32 v3, s24
	v_cvt_f32_u32_e32 v4, s25
	s_sub_u32 s0, 0, s24
	s_subb_u32 s1, 0, s25
	v_mac_f32_e32 v3, 0x4f800000, v4
	v_rcp_f32_e32 v3, v3
	v_mul_f32_e32 v3, 0x5f7ffffc, v3
	v_mul_f32_e32 v4, 0x2f800000, v3
	v_trunc_f32_e32 v4, v4
	v_mac_f32_e32 v3, 0xcf800000, v4
	v_cvt_u32_f32_e32 v4, v4
	v_cvt_u32_f32_e32 v3, v3
	v_mul_lo_u32 v6, s0, v4
	v_mul_hi_u32 v11, s0, v3
	v_mul_lo_u32 v13, s1, v3
	v_mul_lo_u32 v12, s0, v3
	v_add_u32_e32 v6, v11, v6
	v_add_u32_e32 v6, v6, v13
	v_mul_hi_u32 v11, v3, v12
	v_mul_lo_u32 v13, v3, v6
	v_mul_hi_u32 v15, v3, v6
	v_mul_hi_u32 v14, v4, v12
	v_mul_lo_u32 v12, v4, v12
	v_mul_hi_u32 v16, v4, v6
	v_add_co_u32_e32 v11, vcc, v11, v13
	v_addc_co_u32_e32 v13, vcc, 0, v15, vcc
	v_mul_lo_u32 v6, v4, v6
	v_add_co_u32_e32 v11, vcc, v11, v12
	v_addc_co_u32_e32 v11, vcc, v13, v14, vcc
	v_addc_co_u32_e32 v12, vcc, 0, v16, vcc
	v_add_co_u32_e32 v6, vcc, v11, v6
	v_addc_co_u32_e32 v11, vcc, 0, v12, vcc
	v_add_co_u32_e32 v3, vcc, v3, v6
	v_addc_co_u32_e32 v4, vcc, v4, v11, vcc
	v_mul_lo_u32 v6, s0, v4
	v_mul_hi_u32 v11, s0, v3
	v_mul_lo_u32 v12, s1, v3
	v_mul_lo_u32 v13, s0, v3
	v_add_u32_e32 v6, v11, v6
	v_add_u32_e32 v6, v6, v12
	v_mul_lo_u32 v14, v3, v6
	v_mul_hi_u32 v15, v3, v13
	v_mul_hi_u32 v16, v3, v6
	v_mul_hi_u32 v12, v4, v13
	v_mul_lo_u32 v13, v4, v13
	v_mul_hi_u32 v11, v4, v6
	v_add_co_u32_e32 v14, vcc, v15, v14
	v_addc_co_u32_e32 v15, vcc, 0, v16, vcc
	v_mul_lo_u32 v6, v4, v6
	v_add_co_u32_e32 v13, vcc, v14, v13
	v_addc_co_u32_e32 v12, vcc, v15, v12, vcc
	v_addc_co_u32_e32 v11, vcc, 0, v11, vcc
	v_add_co_u32_e32 v6, vcc, v12, v6
	v_addc_co_u32_e32 v11, vcc, 0, v11, vcc
	v_add_co_u32_e32 v6, vcc, v3, v6
	v_addc_co_u32_e32 v11, vcc, v4, v11, vcc
	v_mad_u64_u32 v[3:4], s[0:1], v7, v11, 0
	v_mul_hi_u32 v12, v7, v6
	v_add_co_u32_e32 v13, vcc, v12, v3
	v_addc_co_u32_e32 v14, vcc, 0, v4, vcc
	v_mad_u64_u32 v[3:4], s[0:1], v8, v6, 0
	v_mad_u64_u32 v[11:12], s[0:1], v8, v11, 0
	v_add_co_u32_e32 v3, vcc, v13, v3
	v_addc_co_u32_e32 v3, vcc, v14, v4, vcc
	v_addc_co_u32_e32 v4, vcc, 0, v12, vcc
	v_add_co_u32_e32 v6, vcc, v3, v11
	v_addc_co_u32_e32 v11, vcc, 0, v4, vcc
	v_mul_lo_u32 v12, s25, v6
	v_mul_lo_u32 v13, s24, v11
	v_mad_u64_u32 v[3:4], s[0:1], s24, v6, 0
	v_add3_u32 v4, v4, v13, v12
	v_sub_u32_e32 v12, v8, v4
	v_mov_b32_e32 v13, s25
	v_sub_co_u32_e32 v3, vcc, v7, v3
	v_subb_co_u32_e64 v12, s[0:1], v12, v13, vcc
	v_subrev_co_u32_e64 v13, s[0:1], s24, v3
	v_subbrev_co_u32_e64 v12, s[0:1], 0, v12, s[0:1]
	v_cmp_le_u32_e64 s[0:1], s25, v12
	v_cndmask_b32_e64 v14, 0, -1, s[0:1]
	v_cmp_le_u32_e64 s[0:1], s24, v13
	v_cndmask_b32_e64 v13, 0, -1, s[0:1]
	v_cmp_eq_u32_e64 s[0:1], s25, v12
	v_cndmask_b32_e64 v12, v14, v13, s[0:1]
	v_add_co_u32_e64 v13, s[0:1], 2, v6
	v_addc_co_u32_e64 v14, s[0:1], 0, v11, s[0:1]
	v_add_co_u32_e64 v15, s[0:1], 1, v6
	v_addc_co_u32_e64 v16, s[0:1], 0, v11, s[0:1]
	v_subb_co_u32_e32 v4, vcc, v8, v4, vcc
	v_cmp_ne_u32_e64 s[0:1], 0, v12
	v_cmp_le_u32_e32 vcc, s25, v4
	v_cndmask_b32_e64 v12, v16, v14, s[0:1]
	v_cndmask_b32_e64 v14, 0, -1, vcc
	v_cmp_le_u32_e32 vcc, s24, v3
	v_cndmask_b32_e64 v3, 0, -1, vcc
	v_cmp_eq_u32_e32 vcc, s25, v4
	v_cndmask_b32_e32 v3, v14, v3, vcc
	v_cmp_ne_u32_e32 vcc, 0, v3
	v_cndmask_b32_e64 v3, v15, v13, s[0:1]
	v_cndmask_b32_e32 v4, v11, v12, vcc
	v_cndmask_b32_e32 v3, v6, v3, vcc
.LBB0_4:                                ;   in Loop: Header=BB0_2 Depth=1
	s_andn2_saveexec_b64 s[0:1], s[26:27]
	s_cbranch_execz .LBB0_6
; %bb.5:                                ;   in Loop: Header=BB0_2 Depth=1
	v_cvt_f32_u32_e32 v3, s24
	s_sub_i32 s26, 0, s24
	v_rcp_iflag_f32_e32 v3, v3
	v_mul_f32_e32 v3, 0x4f7ffffe, v3
	v_cvt_u32_f32_e32 v3, v3
	v_mul_lo_u32 v4, s26, v3
	v_mul_hi_u32 v4, v3, v4
	v_add_u32_e32 v3, v3, v4
	v_mul_hi_u32 v3, v7, v3
	v_mul_lo_u32 v4, v3, s24
	v_add_u32_e32 v6, 1, v3
	v_sub_u32_e32 v4, v7, v4
	v_subrev_u32_e32 v11, s24, v4
	v_cmp_le_u32_e32 vcc, s24, v4
	v_cndmask_b32_e32 v4, v4, v11, vcc
	v_cndmask_b32_e32 v3, v3, v6, vcc
	v_add_u32_e32 v6, 1, v3
	v_cmp_le_u32_e32 vcc, s24, v4
	v_cndmask_b32_e32 v3, v3, v6, vcc
	v_mov_b32_e32 v4, v5
.LBB0_6:                                ;   in Loop: Header=BB0_2 Depth=1
	s_or_b64 exec, exec, s[0:1]
	v_mul_lo_u32 v6, v4, s24
	v_mul_lo_u32 v13, v3, s25
	v_mad_u64_u32 v[11:12], s[0:1], v3, s24, 0
	s_load_dwordx2 s[0:1], s[6:7], 0x0
	s_load_dwordx2 s[24:25], s[2:3], 0x0
	v_add3_u32 v6, v12, v13, v6
	v_sub_co_u32_e32 v7, vcc, v7, v11
	v_subb_co_u32_e32 v6, vcc, v8, v6, vcc
	s_waitcnt lgkmcnt(0)
	v_mul_lo_u32 v8, s0, v6
	v_mul_lo_u32 v11, s1, v7
	v_mad_u64_u32 v[9:10], s[0:1], s0, v7, v[9:10]
	v_mul_lo_u32 v6, s24, v6
	v_mul_lo_u32 v12, s25, v7
	v_mad_u64_u32 v[1:2], s[0:1], s24, v7, v[1:2]
	s_add_u32 s22, s22, 1
	s_addc_u32 s23, s23, 0
	s_add_u32 s2, s2, 8
	v_add3_u32 v2, v12, v2, v6
	s_addc_u32 s3, s3, 0
	v_mov_b32_e32 v6, s10
	s_add_u32 s6, s6, 8
	v_mov_b32_e32 v7, s11
	s_addc_u32 s7, s7, 0
	v_cmp_ge_u64_e32 vcc, s[22:23], v[6:7]
	s_add_u32 s20, s20, 8
	v_add3_u32 v10, v11, v10, v8
	s_addc_u32 s21, s21, 0
	s_cbranch_vccnz .LBB0_9
; %bb.7:                                ;   in Loop: Header=BB0_2 Depth=1
	v_mov_b32_e32 v8, v4
	v_mov_b32_e32 v7, v3
	s_branch .LBB0_2
.LBB0_8:
	v_mov_b32_e32 v1, v9
	v_mov_b32_e32 v3, v7
	;; [unrolled: 1-line block ×4, first 2 shown]
.LBB0_9:
	s_load_dwordx2 s[0:1], s[4:5], 0x28
	s_lshl_b64 s[6:7], s[10:11], 3
	s_add_u32 s2, s18, s6
	s_addc_u32 s3, s19, s7
                                        ; implicit-def: $vgpr28
	s_waitcnt lgkmcnt(0)
	v_cmp_gt_u64_e32 vcc, s[0:1], v[3:4]
	v_cmp_le_u64_e64 s[0:1], s[0:1], v[3:4]
	s_and_saveexec_b64 s[4:5], s[0:1]
	s_xor_b64 s[0:1], exec, s[4:5]
; %bb.10:
	s_mov_b32 s4, 0x1e573ad
	v_mul_hi_u32 v5, v0, s4
                                        ; implicit-def: $vgpr9_vgpr10
	v_mul_u32_u24_e32 v5, 0x87, v5
	v_sub_u32_e32 v28, v0, v5
                                        ; implicit-def: $vgpr0
; %bb.11:
	s_or_saveexec_b64 s[4:5], s[0:1]
                                        ; implicit-def: $vgpr23
                                        ; implicit-def: $vgpr21
                                        ; implicit-def: $vgpr25
                                        ; implicit-def: $vgpr19
                                        ; implicit-def: $vgpr6
                                        ; implicit-def: $vgpr17
                                        ; implicit-def: $vgpr15
                                        ; implicit-def: $vgpr8
                                        ; implicit-def: $vgpr13
                                        ; implicit-def: $vgpr11
	s_xor_b64 exec, exec, s[4:5]
	s_cbranch_execz .LBB0_13
; %bb.12:
	s_add_u32 s0, s16, s6
	s_addc_u32 s1, s17, s7
	s_load_dwordx2 s[0:1], s[0:1], 0x0
	s_mov_b32 s6, 0x1e573ad
	v_mul_hi_u32 v7, v0, s6
	s_waitcnt lgkmcnt(0)
	v_mul_lo_u32 v8, s1, v3
	v_mul_lo_u32 v11, s0, v4
	v_mad_u64_u32 v[5:6], s[0:1], s0, v3, 0
	v_mul_u32_u24_e32 v7, 0x87, v7
	v_sub_u32_e32 v28, v0, v7
	v_add3_u32 v6, v6, v11, v8
	v_lshlrev_b64 v[5:6], 3, v[5:6]
	v_mov_b32_e32 v0, s13
	v_add_co_u32_e64 v7, s[0:1], s12, v5
	v_addc_co_u32_e64 v0, s[0:1], v0, v6, s[0:1]
	v_lshlrev_b64 v[5:6], 3, v[9:10]
	v_add_co_u32_e64 v5, s[0:1], v7, v5
	v_addc_co_u32_e64 v0, s[0:1], v0, v6, s[0:1]
	v_lshlrev_b32_e32 v6, 3, v28
	v_add_co_u32_e64 v26, s[0:1], v5, v6
	v_addc_co_u32_e64 v27, s[0:1], 0, v0, s[0:1]
	s_movk_i32 s0, 0x1000
	v_add_co_u32_e64 v29, s[0:1], s0, v26
	v_addc_co_u32_e64 v30, s[0:1], 0, v27, s[0:1]
	s_movk_i32 s0, 0x2000
	v_add_co_u32_e64 v31, s[0:1], s0, v26
	global_load_dwordx2 v[10:11], v[26:27], off
	global_load_dwordx2 v[7:8], v[29:30], off offset:224
	v_addc_co_u32_e64 v32, s[0:1], 0, v27, s[0:1]
	global_load_dwordx2 v[18:19], v[26:27], off offset:3240
	global_load_dwordx2 v[12:13], v[26:27], off offset:2160
	;; [unrolled: 1-line block ×8, first 2 shown]
.LBB0_13:
	s_or_b64 exec, exec, s[4:5]
	s_waitcnt vmcnt(6)
	v_sub_f32_e32 v9, v12, v7
	s_waitcnt vmcnt(1)
	v_sub_f32_e32 v26, v16, v14
	v_add_f32_e32 v9, v26, v9
	v_add_f32_e32 v26, v14, v7
	v_fma_f32 v26, -0.5, v26, v10
	v_add_f32_e32 v0, v12, v10
	v_sub_f32_e32 v27, v13, v17
	v_mov_b32_e32 v29, v26
	v_add_f32_e32 v0, v7, v0
	v_fmac_f32_e32 v29, 0x3f737871, v27
	v_sub_f32_e32 v30, v8, v15
	v_add_f32_e32 v0, v14, v0
	v_fmac_f32_e32 v29, 0x3f167918, v30
	v_add_f32_e32 v0, v16, v0
	v_fmac_f32_e32 v29, 0x3e9e377a, v9
	v_mad_u32_u24 v31, v28, 20, 0
	v_add_f32_e32 v32, v20, v24
	ds_write2_b32 v31, v0, v29 offset1:1
	v_sub_f32_e32 v0, v18, v24
	s_waitcnt vmcnt(0)
	v_sub_f32_e32 v29, v22, v20
	v_fma_f32 v32, -0.5, v32, v5
	v_add_f32_e32 v0, v29, v0
	v_add_f32_e32 v29, v18, v5
	v_sub_f32_e32 v33, v19, v23
	v_mov_b32_e32 v34, v32
	v_add_f32_e32 v29, v24, v29
	v_fmac_f32_e32 v34, 0x3f737871, v33
	v_sub_f32_e32 v35, v25, v21
	v_fmac_f32_e32 v26, 0xbf737871, v27
	v_add_f32_e32 v29, v20, v29
	v_fmac_f32_e32 v34, 0x3f167918, v35
	v_fmac_f32_e32 v26, 0xbf167918, v30
	v_add_f32_e32 v29, v22, v29
	v_fmac_f32_e32 v34, 0x3e9e377a, v0
	v_add_u32_e32 v36, 0xa8c, v31
	v_fmac_f32_e32 v26, 0x3e9e377a, v9
	v_add_f32_e32 v9, v16, v12
	ds_write2_b32 v36, v29, v34 offset1:1
	v_fmac_f32_e32 v10, -0.5, v9
	v_sub_f32_e32 v9, v7, v12
	v_sub_f32_e32 v29, v14, v16
	v_add_f32_e32 v9, v29, v9
	v_mov_b32_e32 v29, v10
	v_fmac_f32_e32 v32, 0xbf737871, v33
	v_fmac_f32_e32 v29, 0xbf737871, v30
	;; [unrolled: 1-line block ×7, first 2 shown]
	v_add_f32_e32 v0, v22, v18
	v_fmac_f32_e32 v29, 0x3e9e377a, v9
	v_fmac_f32_e32 v10, 0x3e9e377a, v9
	v_add_f32_e32 v9, v15, v8
	v_add_f32_e32 v30, v17, v13
	v_sub_f32_e32 v16, v12, v16
	v_fmac_f32_e32 v5, -0.5, v0
	v_sub_f32_e32 v0, v24, v18
	v_sub_f32_e32 v12, v20, v22
	v_fma_f32 v9, -0.5, v9, v11
	v_add_f32_e32 v27, v13, v11
	v_fmac_f32_e32 v11, -0.5, v30
	v_add_f32_e32 v0, v12, v0
	v_mov_b32_e32 v12, v5
	v_sub_f32_e32 v7, v7, v14
	v_mov_b32_e32 v14, v11
	v_fmac_f32_e32 v12, 0xbf737871, v35
	v_fmac_f32_e32 v5, 0x3f737871, v35
	v_sub_f32_e32 v30, v8, v13
	v_sub_f32_e32 v34, v15, v17
	v_fmac_f32_e32 v14, 0x3f737871, v7
	v_fmac_f32_e32 v11, 0xbf737871, v7
	;; [unrolled: 1-line block ×4, first 2 shown]
	v_add_f32_e32 v30, v34, v30
	v_fmac_f32_e32 v14, 0xbf167918, v16
	v_fmac_f32_e32 v11, 0x3f167918, v16
	;; [unrolled: 1-line block ×4, first 2 shown]
	ds_write2_b32 v31, v29, v10 offset0:2 offset1:3
	ds_write_b32 v31, v26 offset:16
	v_add_u32_e32 v26, 0xa94, v31
	v_lshlrev_b32_e32 v0, 4, v28
	v_fmac_f32_e32 v14, 0x3e9e377a, v30
	v_fmac_f32_e32 v11, 0x3e9e377a, v30
	ds_write2_b32 v26, v12, v5 offset1:1
	ds_write_b32 v31, v32 offset:2716
	v_sub_u32_e32 v0, v31, v0
	s_load_dwordx2 s[4:5], s[2:3], 0x0
	s_waitcnt lgkmcnt(0)
	s_barrier
	v_add_u32_e32 v10, 0x400, v0
	v_add_u32_e32 v12, 0x800, v0
	;; [unrolled: 1-line block ×4, first 2 shown]
	ds_read2_b32 v[39:40], v0 offset1:135
	ds_read2_b32 v[41:42], v10 offset0:14 offset1:149
	ds_read2_b32 v[43:44], v12 offset0:28 offset1:163
	;; [unrolled: 1-line block ×4, first 2 shown]
	s_waitcnt lgkmcnt(0)
	s_barrier
	ds_write2_b32 v31, v14, v11 offset0:2 offset1:3
	v_add_f32_e32 v11, v21, v25
	v_sub_f32_e32 v14, v24, v20
	v_sub_f32_e32 v20, v19, v25
	;; [unrolled: 1-line block ×4, first 2 shown]
	v_fma_f32 v11, -0.5, v11, v6
	v_add_f32_e32 v5, v19, v6
	v_add_f32_e32 v20, v22, v20
	v_mov_b32_e32 v22, v11
	v_add_f32_e32 v5, v25, v5
	v_fmac_f32_e32 v22, 0xbf737871, v18
	v_add_f32_e32 v5, v21, v5
	v_fmac_f32_e32 v22, 0xbf167918, v14
	;; [unrolled: 2-line block ×3, first 2 shown]
	ds_write2_b32 v36, v5, v22 offset1:1
	v_sub_f32_e32 v5, v13, v8
	v_sub_f32_e32 v13, v17, v15
	;; [unrolled: 1-line block ×3, first 2 shown]
	v_add_f32_e32 v19, v23, v19
	v_add_f32_e32 v5, v13, v5
	v_mov_b32_e32 v13, v9
	v_fmac_f32_e32 v13, 0xbf737871, v16
	v_fmac_f32_e32 v9, 0x3f737871, v16
	v_fmac_f32_e32 v6, -0.5, v19
	v_fmac_f32_e32 v13, 0xbf167918, v7
	v_fmac_f32_e32 v9, 0x3f167918, v7
	v_mov_b32_e32 v7, v6
	v_sub_f32_e32 v21, v21, v23
	v_add_f32_e32 v8, v8, v27
	v_fmac_f32_e32 v7, 0x3f737871, v14
	v_fmac_f32_e32 v6, 0xbf737871, v14
	v_add_f32_e32 v8, v15, v8
	v_fmac_f32_e32 v13, 0x3e9e377a, v5
	v_fmac_f32_e32 v9, 0x3e9e377a, v5
	v_fmac_f32_e32 v11, 0x3f737871, v18
	v_add_f32_e32 v5, v21, v24
	v_fmac_f32_e32 v7, 0xbf167918, v18
	v_fmac_f32_e32 v6, 0x3f167918, v18
	s_movk_i32 s0, 0xcd
	v_add_f32_e32 v8, v17, v8
	v_fmac_f32_e32 v11, 0x3f167918, v14
	v_fmac_f32_e32 v7, 0x3e9e377a, v5
	;; [unrolled: 1-line block ×3, first 2 shown]
	v_mul_lo_u16_sdwa v5, v28, s0 dst_sel:DWORD dst_unused:UNUSED_PAD src0_sel:BYTE_0 src1_sel:DWORD
	ds_write2_b32 v31, v8, v13 offset1:1
	v_fmac_f32_e32 v11, 0x3e9e377a, v20
	ds_write_b32 v31, v9 offset:16
	ds_write2_b32 v26, v7, v6 offset1:1
	ds_write_b32 v31, v11 offset:2716
	v_lshrrev_b16_e32 v9, 10, v5
	v_mul_lo_u16_e32 v5, 5, v9
	v_sub_u16_e32 v50, v28, v5
	v_mov_b32_e32 v5, 9
	v_mul_u32_u24_sdwa v5, v50, v5 dst_sel:DWORD dst_unused:UNUSED_PAD src0_sel:BYTE_0 src1_sel:DWORD
	v_lshlrev_b32_e32 v5, 3, v5
	s_waitcnt lgkmcnt(0)
	s_barrier
	global_load_dwordx4 v[14:17], v5, s[8:9]
	global_load_dwordx4 v[20:23], v5, s[8:9] offset:16
	global_load_dwordx4 v[30:33], v5, s[8:9] offset:32
	;; [unrolled: 1-line block ×3, first 2 shown]
	global_load_dwordx2 v[7:8], v5, s[8:9] offset:64
	ds_read2_b32 v[5:6], v0 offset1:135
	ds_read2_b32 v[24:25], v10 offset0:14 offset1:149
	s_mov_b32 s0, 0x3f737871
	v_mul_u32_u24_e32 v9, 0xc8, v9
	s_mov_b32 s7, 0xbf737871
	s_mov_b32 s6, 0xbf167918
	s_waitcnt vmcnt(4)
	v_mul_f32_e32 v13, v40, v15
	s_waitcnt lgkmcnt(1)
	v_mul_f32_e32 v11, v6, v15
	v_fmac_f32_e32 v13, v6, v14
	s_waitcnt lgkmcnt(0)
	v_mul_f32_e32 v6, v24, v17
	v_mul_f32_e32 v19, v41, v17
	v_fma_f32 v26, v41, v16, -v6
	v_fmac_f32_e32 v19, v24, v16
	ds_read2_b32 v[15:16], v12 offset0:28 offset1:163
	v_fma_f32 v11, v40, v14, -v11
	s_waitcnt vmcnt(3)
	v_mul_f32_e32 v6, v25, v21
	v_mul_f32_e32 v14, v42, v21
	v_mul_f32_e32 v21, v43, v23
	s_waitcnt lgkmcnt(0)
	v_mul_f32_e32 v17, v15, v23
	v_fma_f32 v29, v43, v22, -v17
	ds_read2_b32 v[17:18], v38 offset0:42 offset1:177
	v_fmac_f32_e32 v21, v15, v22
	s_waitcnt vmcnt(2)
	v_mul_f32_e32 v15, v16, v31
	v_fma_f32 v6, v42, v20, -v6
	v_fmac_f32_e32 v14, v25, v20
	v_fma_f32 v23, v44, v30, -v15
	v_mul_f32_e32 v20, v44, v31
	s_waitcnt lgkmcnt(0)
	v_mul_f32_e32 v15, v17, v33
	v_fmac_f32_e32 v20, v16, v30
	v_fma_f32 v30, v45, v32, -v15
	ds_read2_b32 v[15:16], v49 offset0:56 offset1:191
	v_mul_f32_e32 v24, v45, v33
	s_waitcnt vmcnt(1)
	v_mul_f32_e32 v22, v46, v35
	v_fmac_f32_e32 v24, v17, v32
	v_mul_f32_e32 v17, v18, v35
	v_fmac_f32_e32 v22, v18, v34
	s_waitcnt lgkmcnt(0)
	v_mul_f32_e32 v18, v15, v37
	v_mul_f32_e32 v27, v47, v37
	v_fma_f32 v31, v47, v36, -v18
	v_fmac_f32_e32 v27, v15, v36
	s_waitcnt vmcnt(0)
	v_mul_f32_e32 v15, v16, v8
	v_mul_f32_e32 v25, v48, v8
	v_fma_f32 v15, v48, v7, -v15
	v_fmac_f32_e32 v25, v16, v7
	v_add_f32_e32 v7, v29, v30
	v_add_f32_e32 v16, v26, v31
	v_fma_f32 v17, v46, v34, -v17
	v_fma_f32 v7, -0.5, v7, v39
	v_add_f32_e32 v8, v39, v26
	v_fmac_f32_e32 v39, -0.5, v16
	v_sub_f32_e32 v16, v29, v26
	v_sub_f32_e32 v18, v30, v31
	v_add_f32_e32 v16, v16, v18
	v_add_f32_e32 v18, v23, v17
	;; [unrolled: 1-line block ×3, first 2 shown]
	v_fma_f32 v32, -0.5, v18, v11
	v_add_f32_e32 v18, v11, v6
	v_fmac_f32_e32 v11, -0.5, v33
	v_sub_f32_e32 v33, v23, v6
	v_sub_f32_e32 v34, v17, v15
	v_add_f32_e32 v34, v33, v34
	v_sub_f32_e32 v33, v20, v14
	v_sub_f32_e32 v35, v22, v25
	;; [unrolled: 1-line block ×3, first 2 shown]
	v_add_f32_e32 v37, v14, v25
	v_add_f32_e32 v35, v33, v35
	v_mov_b32_e32 v33, v11
	v_fmac_f32_e32 v11, 0x3f737871, v45
	v_sub_f32_e32 v46, v14, v25
	v_fma_f32 v37, -0.5, v37, v13
	v_sub_f32_e32 v47, v23, v17
	v_add_f32_e32 v18, v18, v23
	v_sub_f32_e32 v36, v21, v24
	v_fmac_f32_e32 v11, 0xbf167918, v46
	v_mov_b32_e32 v38, v37
	v_fmac_f32_e32 v37, 0xbf737871, v47
	v_sub_f32_e32 v48, v6, v15
	v_add_f32_e32 v18, v18, v17
	v_mov_b32_e32 v43, v39
	v_fmac_f32_e32 v39, 0x3f737871, v36
	v_sub_f32_e32 v44, v19, v27
	v_fmac_f32_e32 v11, 0x3e9e377a, v34
	v_fmac_f32_e32 v37, 0x3f167918, v48
	v_sub_f32_e32 v6, v6, v23
	v_add_f32_e32 v18, v18, v15
	v_sub_f32_e32 v15, v15, v17
	v_fmac_f32_e32 v39, 0xbf167918, v44
	v_fmac_f32_e32 v37, 0x3e9e377a, v35
	v_mul_f32_e32 v40, 0x3e9e377a, v11
	v_add_f32_e32 v6, v6, v15
	v_sub_f32_e32 v15, v14, v20
	v_sub_f32_e32 v17, v25, v22
	v_fmac_f32_e32 v39, 0x3e9e377a, v16
	v_fma_f32 v40, v37, s0, -v40
	v_add_f32_e32 v15, v15, v17
	v_mov_b32_e32 v17, 2
	v_add_f32_e32 v49, v39, v40
	v_sub_f32_e32 v51, v39, v40
	v_sub_f32_e32 v39, v26, v29
	;; [unrolled: 1-line block ×3, first 2 shown]
	v_lshlrev_b32_sdwa v17, v17, v50 dst_sel:DWORD dst_unused:UNUSED_PAD src0_sel:DWORD src1_sel:BYTE_0
	v_add_f32_e32 v52, v39, v40
	v_add3_u32 v39, 0, v9, v17
	v_add_f32_e32 v17, v20, v22
	v_fma_f32 v40, -0.5, v17, v13
	v_mov_b32_e32 v42, v40
	v_mov_b32_e32 v41, v32
	v_fmac_f32_e32 v42, 0xbf737871, v48
	v_add_f32_e32 v8, v8, v29
	v_mov_b32_e32 v9, v7
	v_fmac_f32_e32 v41, 0x3f737871, v46
	v_fmac_f32_e32 v42, 0xbf167918, v47
	;; [unrolled: 1-line block ×4, first 2 shown]
	v_add_f32_e32 v8, v8, v30
	v_fmac_f32_e32 v9, 0x3f737871, v44
	v_fmac_f32_e32 v41, 0x3f167918, v45
	;; [unrolled: 1-line block ×8, first 2 shown]
	v_add_f32_e32 v8, v8, v31
	v_fmac_f32_e32 v9, 0x3f167918, v36
	v_fmac_f32_e32 v41, 0x3e9e377a, v6
	v_mul_f32_e32 v17, 0x3f167918, v42
	v_fmac_f32_e32 v43, 0x3f167918, v44
	v_fmac_f32_e32 v33, 0x3f167918, v46
	;; [unrolled: 1-line block ×8, first 2 shown]
	v_add_f32_e32 v23, v8, v18
	v_fmac_f32_e32 v43, 0x3e9e377a, v16
	v_fmac_f32_e32 v33, 0x3e9e377a, v34
	v_mul_f32_e32 v16, 0x3f737871, v38
	v_fmac_f32_e32 v7, 0xbf167918, v36
	v_fmac_f32_e32 v40, 0x3e9e377a, v15
	v_sub_f32_e32 v6, v8, v18
	s_mov_b32 s0, 0x3f167918
	v_mul_f32_e32 v8, 0x3f4f1bbd, v32
	v_add_f32_e32 v50, v9, v17
	v_fmac_f32_e32 v16, 0x3e9e377a, v33
	v_fmac_f32_e32 v7, 0x3e9e377a, v52
	v_fma_f32 v8, v40, s0, -v8
	s_barrier
	ds_write2_b32 v39, v23, v50 offset1:5
	v_add_f32_e32 v23, v43, v16
	v_add_f32_e32 v15, v7, v8
	ds_write2_b32 v39, v23, v49 offset0:10 offset1:15
	ds_write2_b32 v39, v15, v6 offset0:20 offset1:25
	v_sub_f32_e32 v6, v9, v17
	v_sub_f32_e32 v9, v43, v16
	;; [unrolled: 1-line block ×3, first 2 shown]
	ds_write2_b32 v39, v6, v9 offset0:30 offset1:35
	ds_write2_b32 v39, v51, v23 offset0:40 offset1:45
	s_waitcnt lgkmcnt(0)
	s_barrier
	v_add_u32_e32 v43, 0xe00, v0
	ds_read_b32 v34, v0 offset:4680
	ds_read2_b32 v[8:9], v0 offset1:135
	ds_read2_b32 v[6:7], v10 offset0:14 offset1:194
	ds_read2_b32 v[17:18], v43 offset0:4 offset1:139
	;; [unrolled: 1-line block ×3, first 2 shown]
	v_cmp_gt_u32_e64 s[0:1], 45, v28
                                        ; implicit-def: $vgpr35
                                        ; implicit-def: $vgpr36
	s_and_saveexec_b64 s[2:3], s[0:1]
	s_cbranch_execz .LBB0_15
; %bb.14:
	ds_read_b32 v23, v0 offset:1620
	ds_read_b32 v36, v0 offset:3420
	;; [unrolled: 1-line block ×3, first 2 shown]
.LBB0_15:
	s_or_b64 exec, exec, s[2:3]
	v_add_f32_e32 v45, v21, v24
	v_fma_f32 v45, -0.5, v45, v5
	v_sub_f32_e32 v26, v26, v31
	v_mov_b32_e32 v31, v45
	v_fmac_f32_e32 v31, 0xbf737871, v26
	v_sub_f32_e32 v29, v29, v30
	v_sub_f32_e32 v30, v19, v21
	;; [unrolled: 1-line block ×3, first 2 shown]
	v_fmac_f32_e32 v45, 0x3f737871, v26
	v_fmac_f32_e32 v31, 0xbf167918, v29
	v_add_f32_e32 v30, v30, v46
	v_fmac_f32_e32 v45, 0x3f167918, v29
	v_fmac_f32_e32 v31, 0x3e9e377a, v30
	;; [unrolled: 1-line block ×3, first 2 shown]
	v_add_f32_e32 v30, v19, v27
	v_add_f32_e32 v44, v5, v19
	v_fmac_f32_e32 v5, -0.5, v30
	v_mov_b32_e32 v30, v5
	v_add_f32_e32 v44, v44, v21
	v_fmac_f32_e32 v30, 0x3f737871, v29
	v_sub_f32_e32 v19, v21, v19
	v_sub_f32_e32 v21, v24, v27
	v_fmac_f32_e32 v5, 0xbf737871, v29
	v_add_f32_e32 v13, v13, v14
	v_fmac_f32_e32 v30, 0xbf167918, v26
	v_add_f32_e32 v19, v19, v21
	;; [unrolled: 2-line block ×3, first 2 shown]
	v_add_f32_e32 v44, v44, v24
	v_fmac_f32_e32 v30, 0x3e9e377a, v19
	v_fmac_f32_e32 v5, 0x3e9e377a, v19
	v_add_f32_e32 v13, v13, v22
	v_mul_f32_e32 v19, 0xbf167918, v41
	v_mul_f32_e32 v21, 0xbf737871, v33
	;; [unrolled: 1-line block ×3, first 2 shown]
	v_add_f32_e32 v44, v44, v27
	v_add_f32_e32 v13, v13, v25
	v_fmac_f32_e32 v19, 0x3f4f1bbd, v42
	v_fmac_f32_e32 v21, 0x3e9e377a, v38
	v_fma_f32 v11, v11, s7, -v24
	v_mul_f32_e32 v24, 0x3f4f1bbd, v40
	v_add_f32_e32 v14, v44, v13
	v_add_f32_e32 v20, v31, v19
	;; [unrolled: 1-line block ×3, first 2 shown]
	v_fma_f32 v24, v32, s6, -v24
	v_sub_f32_e32 v13, v44, v13
	v_sub_f32_e32 v19, v31, v19
	v_sub_f32_e32 v21, v30, v21
	v_add_f32_e32 v25, v5, v11
	v_add_f32_e32 v26, v45, v24
	v_sub_f32_e32 v5, v5, v11
	v_sub_f32_e32 v24, v45, v24
	s_waitcnt lgkmcnt(0)
	s_barrier
	ds_write2_b32 v39, v14, v20 offset1:5
	ds_write2_b32 v39, v22, v25 offset0:10 offset1:15
	ds_write2_b32 v39, v26, v13 offset0:20 offset1:25
	ds_write2_b32 v39, v19, v21 offset0:30 offset1:35
	ds_write2_b32 v39, v5, v24 offset0:40 offset1:45
	s_waitcnt lgkmcnt(0)
	s_barrier
	ds_read2_b32 v[13:14], v0 offset1:135
	ds_read2_b32 v[10:11], v10 offset0:14 offset1:194
	ds_read2_b32 v[21:22], v43 offset0:4 offset1:139
	;; [unrolled: 1-line block ×3, first 2 shown]
	ds_read_b32 v12, v0 offset:4680
                                        ; implicit-def: $vgpr5
                                        ; implicit-def: $vgpr27
	s_and_saveexec_b64 s[2:3], s[0:1]
	s_cbranch_execz .LBB0_17
; %bb.16:
	ds_read_b32 v24, v0 offset:1620
	ds_read_b32 v27, v0 offset:3420
	;; [unrolled: 1-line block ×3, first 2 shown]
.LBB0_17:
	s_or_b64 exec, exec, s[2:3]
	v_add_u32_e32 v32, 0x87, v28
	v_mov_b32_e32 v25, 41
	v_mul_lo_u16_sdwa v25, v28, v25 dst_sel:DWORD dst_unused:UNUSED_PAD src0_sel:BYTE_0 src1_sel:DWORD
	v_lshrrev_b16_e32 v26, 1, v32
	v_lshrrev_b16_e32 v59, 11, v25
	v_mul_u32_u24_e32 v26, 0x147b, v26
	v_mul_lo_u16_e32 v25, 50, v59
	v_lshrrev_b32_e32 v61, 17, v26
	v_sub_u16_e32 v60, v28, v25
	v_mov_b32_e32 v25, 4
	v_mul_lo_u16_e32 v26, 50, v61
	v_lshlrev_b32_sdwa v25, v25, v60 dst_sel:DWORD dst_unused:UNUSED_PAD src0_sel:DWORD src1_sel:BYTE_0
	v_sub_u16_e32 v62, v32, v26
	v_add_u32_e32 v33, 0x10e, v28
	global_load_dwordx4 v[43:46], v25, s[8:9] offset:360
	v_lshlrev_b32_e32 v25, 4, v62
	global_load_dwordx4 v[47:50], v25, s[8:9] offset:360
	v_lshrrev_b16_e32 v25, 1, v33
	v_mul_u32_u24_e32 v26, 0x147b, v25
	v_lshrrev_b32_e32 v63, 17, v26
	v_add_u32_e32 v29, 0x195, v28
	v_mul_lo_u16_e32 v26, 50, v63
	v_sub_u16_e32 v64, v33, v26
	v_lshrrev_b16_e32 v26, 1, v29
	v_mul_u32_u24_e32 v31, 0x147b, v26
	v_lshlrev_b32_e32 v30, 4, v64
	v_lshrrev_b32_e32 v31, 17, v31
	global_load_dwordx4 v[51:54], v30, s[8:9] offset:360
	v_mul_lo_u16_e32 v30, 50, v31
	v_sub_u16_e32 v65, v29, v30
	v_lshlrev_b32_e32 v30, 4, v65
	global_load_dwordx4 v[55:58], v30, s[8:9] offset:360
	s_waitcnt vmcnt(0) lgkmcnt(0)
	s_barrier
	v_mul_f32_e32 v30, v11, v44
	v_mul_f32_e32 v39, v7, v44
	;; [unrolled: 1-line block ×4, first 2 shown]
	v_fma_f32 v40, v7, v43, -v30
	v_fmac_f32_e32 v39, v11, v43
	v_fma_f32 v43, v17, v45, -v31
	v_mul_f32_e32 v11, v19, v48
	v_mul_f32_e32 v17, v22, v50
	v_fma_f32 v44, v18, v49, -v17
	v_fma_f32 v46, v15, v47, -v11
	v_add_f32_e32 v11, v40, v43
	v_fmac_f32_e32 v42, v21, v45
	v_mul_f32_e32 v38, v15, v48
	v_mul_f32_e32 v41, v18, v50
	v_mul_f32_e32 v31, v34, v54
	v_fma_f32 v11, -0.5, v11, v8
	v_mul_f32_e32 v48, v27, v56
	v_mul_f32_e32 v37, v35, v58
	v_add_f32_e32 v15, v46, v44
	v_mul_f32_e32 v30, v20, v52
	v_mul_f32_e32 v45, v12, v54
	;; [unrolled: 1-line block ×4, first 2 shown]
	v_fmac_f32_e32 v38, v19, v47
	v_fmac_f32_e32 v41, v22, v49
	;; [unrolled: 1-line block ×3, first 2 shown]
	v_fma_f32 v19, v36, v55, -v48
	v_fmac_f32_e32 v37, v5, v57
	v_add_f32_e32 v5, v8, v40
	v_sub_f32_e32 v12, v39, v42
	v_add_f32_e32 v8, v9, v46
	v_mov_b32_e32 v36, v11
	v_fmac_f32_e32 v9, -0.5, v15
	v_mul_f32_e32 v21, v16, v52
	v_fma_f32 v22, v16, v51, -v30
	v_fma_f32 v45, v34, v53, -v45
	v_sub_f32_e32 v16, v38, v41
	v_fmac_f32_e32 v11, 0xbf5db3d7, v12
	v_fmac_f32_e32 v36, 0x3f5db3d7, v12
	v_mov_b32_e32 v12, v9
	v_fmac_f32_e32 v21, v20, v51
	v_fma_f32 v20, v35, v57, -v17
	v_add_f32_e32 v18, v22, v45
	v_fmac_f32_e32 v9, 0xbf5db3d7, v16
	v_fmac_f32_e32 v12, 0x3f5db3d7, v16
	v_mov_b32_e32 v16, 2
	v_add_f32_e32 v17, v6, v22
	v_add_f32_e32 v34, v19, v20
	;; [unrolled: 1-line block ×3, first 2 shown]
	v_fmac_f32_e32 v6, -0.5, v18
	v_mul_u32_u24_e32 v8, 0x258, v59
	v_lshlrev_b32_sdwa v16, v16, v60 dst_sel:DWORD dst_unused:UNUSED_PAD src0_sel:DWORD src1_sel:BYTE_0
	v_fmac_f32_e32 v7, v27, v55
	v_add_f32_e32 v5, v5, v43
	v_sub_f32_e32 v27, v21, v31
	v_add_f32_e32 v30, v23, v19
	v_add_f32_e32 v15, v17, v45
	v_fmac_f32_e32 v23, -0.5, v34
	v_mov_b32_e32 v17, v6
	v_add3_u32 v8, 0, v8, v16
	v_sub_f32_e32 v35, v7, v37
	v_fmac_f32_e32 v6, 0xbf5db3d7, v27
	v_fmac_f32_e32 v17, 0x3f5db3d7, v27
	v_mov_b32_e32 v27, v23
	ds_write2_b32 v8, v5, v36 offset1:50
	ds_write_b32 v8, v11 offset:400
	v_mul_u32_u24_e32 v5, 0x258, v61
	v_lshlrev_b32_e32 v11, 2, v62
	v_fmac_f32_e32 v27, 0x3f5db3d7, v35
	v_fmac_f32_e32 v23, 0xbf5db3d7, v35
	v_add3_u32 v35, 0, v5, v11
	ds_write2_b32 v35, v47, v12 offset1:50
	ds_write_b32 v35, v9 offset:400
	v_mul_u32_u24_e32 v5, 0x258, v63
	v_lshlrev_b32_e32 v9, 2, v64
	v_add_f32_e32 v30, v30, v20
	v_add3_u32 v47, 0, v5, v9
	v_lshl_add_u32 v9, v65, 2, 0
	ds_write2_b32 v47, v15, v17 offset1:50
	ds_write_b32 v47, v6 offset:400
	s_and_saveexec_b64 s[2:3], s[0:1]
	s_cbranch_execz .LBB0_19
; %bb.18:
	v_add_u32_e32 v5, 0x1000, v9
	ds_write2_b32 v5, v30, v27 offset0:176 offset1:226
	ds_write_b32 v9, v23 offset:5200
.LBB0_19:
	s_or_b64 exec, exec, s[2:3]
	v_add_u32_e32 v11, 0x400, v0
	v_add_u32_e32 v15, 0xe00, v0
	;; [unrolled: 1-line block ×3, first 2 shown]
	s_waitcnt lgkmcnt(0)
	s_barrier
	ds_read2_b32 v[5:6], v0 offset1:135
	ds_read2_b32 v[11:12], v11 offset0:14 offset1:194
	ds_read2_b32 v[15:16], v15 offset0:4 offset1:139
	;; [unrolled: 1-line block ×3, first 2 shown]
	ds_read_b32 v34, v0 offset:4680
	s_and_saveexec_b64 s[2:3], s[0:1]
	s_cbranch_execz .LBB0_21
; %bb.20:
	ds_read_b32 v30, v0 offset:1620
	ds_read_b32 v27, v0 offset:3420
	;; [unrolled: 1-line block ×3, first 2 shown]
.LBB0_21:
	s_or_b64 exec, exec, s[2:3]
	v_add_f32_e32 v36, v13, v39
	v_add_f32_e32 v48, v36, v42
	;; [unrolled: 1-line block ×3, first 2 shown]
	v_fma_f32 v13, -0.5, v36, v13
	v_sub_f32_e32 v36, v40, v43
	v_mov_b32_e32 v39, v13
	v_fmac_f32_e32 v39, 0xbf5db3d7, v36
	v_fmac_f32_e32 v13, 0x3f5db3d7, v36
	v_add_f32_e32 v36, v14, v38
	v_add_f32_e32 v40, v36, v41
	;; [unrolled: 1-line block ×3, first 2 shown]
	v_fmac_f32_e32 v14, -0.5, v36
	v_sub_f32_e32 v36, v46, v44
	v_mov_b32_e32 v38, v14
	v_fmac_f32_e32 v38, 0xbf5db3d7, v36
	v_fmac_f32_e32 v14, 0x3f5db3d7, v36
	v_add_f32_e32 v36, v10, v21
	v_add_f32_e32 v21, v21, v31
	v_fmac_f32_e32 v10, -0.5, v21
	v_sub_f32_e32 v21, v22, v45
	v_mov_b32_e32 v22, v10
	v_fmac_f32_e32 v22, 0xbf5db3d7, v21
	v_fmac_f32_e32 v10, 0x3f5db3d7, v21
	v_add_f32_e32 v21, v24, v7
	v_add_f32_e32 v7, v7, v37
	v_fmac_f32_e32 v24, -0.5, v7
	v_add_f32_e32 v41, v36, v31
	v_sub_f32_e32 v7, v19, v20
	v_mov_b32_e32 v36, v24
	v_add_f32_e32 v31, v21, v37
	v_fmac_f32_e32 v36, 0xbf5db3d7, v7
	v_fmac_f32_e32 v24, 0x3f5db3d7, v7
	s_waitcnt lgkmcnt(0)
	s_barrier
	ds_write2_b32 v8, v48, v39 offset1:50
	ds_write_b32 v8, v13 offset:400
	ds_write2_b32 v35, v40, v38 offset1:50
	ds_write_b32 v35, v14 offset:400
	;; [unrolled: 2-line block ×3, first 2 shown]
	s_and_saveexec_b64 s[2:3], s[0:1]
	s_cbranch_execz .LBB0_23
; %bb.22:
	v_add_u32_e32 v7, 0x1000, v9
	ds_write2_b32 v7, v31, v36 offset0:176 offset1:226
	ds_write_b32 v9, v24 offset:5200
.LBB0_23:
	s_or_b64 exec, exec, s[2:3]
	v_add_u32_e32 v7, 0x400, v0
	s_waitcnt lgkmcnt(0)
	s_barrier
	ds_read2_b32 v[13:14], v7 offset0:14 offset1:194
	v_add_u32_e32 v7, 0xe00, v0
	ds_read2_b32 v[19:20], v7 offset0:4 offset1:139
	v_add_u32_e32 v7, 0x800, v0
	ds_read2_b32 v[9:10], v0 offset1:135
	ds_read2_b32 v[21:22], v7 offset0:73 offset1:208
	ds_read_b32 v46, v0 offset:4680
	s_and_saveexec_b64 s[2:3], s[0:1]
	s_cbranch_execz .LBB0_25
; %bb.24:
	ds_read_b32 v31, v0 offset:1620
	ds_read_b32 v36, v0 offset:3420
	;; [unrolled: 1-line block ×3, first 2 shown]
.LBB0_25:
	s_or_b64 exec, exec, s[2:3]
	v_lshlrev_b32_e32 v37, 1, v28
	v_mov_b32_e32 v38, 0
	v_lshlrev_b64 v[7:8], 3, v[37:38]
	v_mov_b32_e32 v35, s9
	v_add_co_u32_e64 v7, s[2:3], s8, v7
	v_addc_co_u32_e64 v8, s[2:3], v35, v8, s[2:3]
	v_mul_u32_u24_e32 v25, 0xda75, v25
	v_add_u32_e32 v37, -15, v28
	v_cmp_gt_u32_e64 s[2:3], 15, v28
	v_lshrrev_b32_e32 v60, 22, v25
	v_mul_u32_u24_e32 v26, 0xda75, v26
	v_cndmask_b32_e64 v59, v37, v32, s[2:3]
	v_mul_lo_u16_e32 v25, 0x96, v60
	v_lshrrev_b32_e32 v26, 22, v26
	v_lshlrev_b32_e32 v37, 1, v59
	v_sub_u16_e32 v61, v33, v25
	v_mul_lo_u16_e32 v26, 0x96, v26
	v_lshlrev_b64 v[37:38], 3, v[37:38]
	v_lshlrev_b32_e32 v25, 4, v61
	v_sub_u16_e32 v62, v29, v26
	global_load_dwordx4 v[42:45], v[7:8], off offset:1160
	global_load_dwordx4 v[47:50], v25, s[8:9] offset:1160
	v_lshlrev_b32_e32 v25, 4, v62
	global_load_dwordx4 v[51:54], v25, s[8:9] offset:1160
	v_add_co_u32_e64 v25, s[2:3], s8, v37
	v_addc_co_u32_e64 v26, s[2:3], v35, v38, s[2:3]
	global_load_dwordx4 v[55:58], v[25:26], off offset:1160
	s_waitcnt vmcnt(0) lgkmcnt(0)
	s_barrier
	v_cmp_lt_u32_e64 s[2:3], 14, v28
	v_mul_f32_e32 v25, v14, v43
	v_mul_f32_e32 v38, v12, v43
	;; [unrolled: 1-line block ×3, first 2 shown]
	v_fma_f32 v39, v12, v42, -v25
	v_fmac_f32_e32 v38, v14, v42
	v_fma_f32 v42, v15, v44, -v26
	v_mul_f32_e32 v14, v46, v50
	v_mul_f32_e32 v41, v15, v45
	v_fma_f32 v43, v34, v49, -v14
	v_add_f32_e32 v14, v39, v42
	v_fmac_f32_e32 v41, v19, v44
	v_mul_f32_e32 v12, v22, v48
	v_mul_f32_e32 v26, v18, v48
	;; [unrolled: 1-line block ×8, first 2 shown]
	v_fma_f32 v14, -0.5, v14, v5
	v_mul_f32_e32 v25, v27, v52
	v_mul_f32_e32 v19, v24, v54
	v_fma_f32 v40, v18, v47, -v12
	v_fmac_f32_e32 v26, v22, v47
	v_fma_f32 v22, v27, v51, -v15
	v_fmac_f32_e32 v35, v24, v53
	v_add_f32_e32 v12, v5, v39
	v_sub_f32_e32 v15, v38, v41
	v_fma_f32 v24, v17, v55, -v48
	v_fmac_f32_e32 v44, v21, v55
	v_fma_f32 v21, v16, v57, -v50
	v_mov_b32_e32 v27, v14
	v_mul_f32_e32 v45, v16, v58
	v_fmac_f32_e32 v25, v36, v51
	v_add_f32_e32 v12, v12, v42
	v_add_f32_e32 v36, v24, v21
	v_fmac_f32_e32 v27, 0x3f5db3d7, v15
	v_fma_f32 v23, v23, v53, -v19
	v_fmac_f32_e32 v45, v20, v57
	v_add_f32_e32 v5, v11, v40
	v_add_f32_e32 v18, v30, v22
	v_fmac_f32_e32 v14, 0xbf5db3d7, v15
	v_add_f32_e32 v34, v6, v24
	v_fmac_f32_e32 v6, -0.5, v36
	ds_write2_b32 v0, v12, v27 offset1:150
	ds_write_b32 v0, v14 offset:1200
	v_mov_b32_e32 v12, 0x708
	v_fmac_f32_e32 v37, v46, v49
	v_add_f32_e32 v16, v40, v43
	v_add_f32_e32 v19, v22, v23
	v_sub_f32_e32 v46, v44, v45
	v_add_f32_e32 v47, v5, v43
	v_add_f32_e32 v5, v18, v23
	v_mov_b32_e32 v18, v6
	v_cndmask_b32_e64 v12, 0, v12, s[2:3]
	v_lshlrev_b32_e32 v14, 2, v59
	v_fmac_f32_e32 v11, -0.5, v16
	v_fmac_f32_e32 v30, -0.5, v19
	v_add_f32_e32 v15, v34, v21
	v_fmac_f32_e32 v6, 0xbf5db3d7, v46
	v_fmac_f32_e32 v18, 0x3f5db3d7, v46
	v_add3_u32 v27, 0, v12, v14
	v_sub_f32_e32 v17, v26, v37
	v_sub_f32_e32 v20, v25, v35
	v_mov_b32_e32 v16, v11
	v_mov_b32_e32 v34, v30
	ds_write2_b32 v27, v15, v18 offset1:150
	ds_write_b32 v27, v6 offset:1200
	v_mul_u32_u24_e32 v6, 0x708, v60
	v_lshlrev_b32_e32 v12, 2, v61
	v_fmac_f32_e32 v16, 0x3f5db3d7, v17
	v_fmac_f32_e32 v34, 0x3f5db3d7, v20
	;; [unrolled: 1-line block ×3, first 2 shown]
	v_add3_u32 v46, 0, v6, v12
	v_lshl_add_u32 v20, v62, 2, 0
	v_fmac_f32_e32 v11, 0xbf5db3d7, v17
	ds_write2_b32 v46, v47, v16 offset1:150
	ds_write_b32 v46, v11 offset:1200
	s_and_saveexec_b64 s[2:3], s[0:1]
	s_cbranch_execz .LBB0_27
; %bb.26:
	v_add_u32_e32 v6, 0xe00, v20
	ds_write2_b32 v6, v5, v34 offset0:4 offset1:154
	ds_write_b32 v20, v30 offset:4800
.LBB0_27:
	s_or_b64 exec, exec, s[2:3]
	v_add_u32_e32 v6, 0x400, v0
	s_waitcnt lgkmcnt(0)
	s_barrier
	ds_read2_b32 v[14:15], v6 offset0:14 offset1:194
	v_add_u32_e32 v6, 0xe00, v0
	ds_read2_b32 v[16:17], v6 offset0:4 offset1:139
	v_add_u32_e32 v6, 0x800, v0
	ds_read2_b32 v[11:12], v0 offset1:135
	ds_read2_b32 v[18:19], v6 offset0:73 offset1:208
	ds_read_b32 v36, v0 offset:4680
	s_and_saveexec_b64 s[2:3], s[0:1]
	s_cbranch_execz .LBB0_29
; %bb.28:
	ds_read_b32 v5, v0 offset:1620
	ds_read_b32 v34, v0 offset:3420
	;; [unrolled: 1-line block ×3, first 2 shown]
.LBB0_29:
	s_or_b64 exec, exec, s[2:3]
	v_add_f32_e32 v6, v9, v38
	v_add_f32_e32 v47, v6, v41
	;; [unrolled: 1-line block ×3, first 2 shown]
	v_fma_f32 v9, -0.5, v6, v9
	v_sub_f32_e32 v6, v39, v42
	v_mov_b32_e32 v38, v9
	v_fmac_f32_e32 v38, 0xbf5db3d7, v6
	v_fmac_f32_e32 v9, 0x3f5db3d7, v6
	v_add_f32_e32 v6, v10, v44
	v_add_f32_e32 v39, v6, v45
	;; [unrolled: 1-line block ×3, first 2 shown]
	v_fmac_f32_e32 v10, -0.5, v6
	v_sub_f32_e32 v6, v24, v21
	v_mov_b32_e32 v21, v10
	v_fmac_f32_e32 v21, 0xbf5db3d7, v6
	v_fmac_f32_e32 v10, 0x3f5db3d7, v6
	v_add_f32_e32 v6, v13, v26
	v_add_f32_e32 v24, v6, v37
	;; [unrolled: 1-line block ×3, first 2 shown]
	v_fmac_f32_e32 v13, -0.5, v6
	v_sub_f32_e32 v6, v40, v43
	v_mov_b32_e32 v26, v13
	v_fmac_f32_e32 v26, 0xbf5db3d7, v6
	v_fmac_f32_e32 v13, 0x3f5db3d7, v6
	v_add_f32_e32 v6, v31, v25
	v_add_f32_e32 v25, v25, v35
	v_fmac_f32_e32 v31, -0.5, v25
	v_add_f32_e32 v6, v6, v35
	v_sub_f32_e32 v22, v22, v23
	v_mov_b32_e32 v35, v31
	v_fmac_f32_e32 v35, 0xbf5db3d7, v22
	v_fmac_f32_e32 v31, 0x3f5db3d7, v22
	s_waitcnt lgkmcnt(0)
	s_barrier
	ds_write2_b32 v0, v47, v38 offset1:150
	ds_write_b32 v0, v9 offset:1200
	ds_write2_b32 v27, v39, v21 offset1:150
	ds_write_b32 v27, v10 offset:1200
	;; [unrolled: 2-line block ×3, first 2 shown]
	s_and_saveexec_b64 s[2:3], s[0:1]
	s_cbranch_execz .LBB0_31
; %bb.30:
	v_add_u32_e32 v9, 0xe00, v20
	ds_write2_b32 v9, v6, v35 offset0:4 offset1:154
	ds_write_b32 v20, v31 offset:4800
.LBB0_31:
	s_or_b64 exec, exec, s[2:3]
	v_add_u32_e32 v9, 0x400, v0
	s_waitcnt lgkmcnt(0)
	s_barrier
	ds_read2_b32 v[22:23], v9 offset0:14 offset1:194
	v_add_u32_e32 v9, 0xe00, v0
	ds_read2_b32 v[24:25], v9 offset0:4 offset1:139
	v_add_u32_e32 v9, 0x800, v0
	ds_read2_b32 v[20:21], v0 offset1:135
	ds_read2_b32 v[26:27], v9 offset0:73 offset1:208
	ds_read_b32 v13, v0 offset:4680
	s_and_saveexec_b64 s[2:3], s[0:1]
	s_cbranch_execz .LBB0_33
; %bb.32:
	ds_read_b32 v6, v0 offset:1620
	ds_read_b32 v35, v0 offset:3420
	;; [unrolled: 1-line block ×3, first 2 shown]
.LBB0_33:
	s_or_b64 exec, exec, s[2:3]
	s_and_saveexec_b64 s[2:3], vcc
	s_cbranch_execz .LBB0_36
; %bb.34:
	v_lshlrev_b32_e32 v9, 1, v33
	v_mov_b32_e32 v10, 0
	v_lshlrev_b64 v[37:38], 3, v[9:10]
	v_mov_b32_e32 v0, s9
	v_add_co_u32_e32 v45, vcc, s8, v37
	v_addc_co_u32_e32 v46, vcc, v0, v38, vcc
	v_lshlrev_b32_e32 v9, 1, v32
	global_load_dwordx4 v[37:40], v[45:46], off offset:3560
	global_load_dwordx4 v[41:44], v[7:8], off offset:3560
	v_lshlrev_b64 v[7:8], 3, v[9:10]
	v_add_co_u32_e32 v7, vcc, s8, v7
	v_addc_co_u32_e32 v8, vcc, v0, v8, vcc
	global_load_dwordx4 v[45:48], v[7:8], off offset:3560
	v_mul_lo_u32 v0, s5, v3
	v_mul_lo_u32 v7, s4, v4
	v_mad_u64_u32 v[3:4], s[2:3], s4, v3, 0
	s_mov_b32 s2, 0x91a2b3c5
	s_movk_i32 s4, 0x1000
	v_add3_u32 v4, v4, v7, v0
	v_lshlrev_b64 v[3:4], 3, v[3:4]
	s_movk_i32 s3, 0x1c2
	v_add_co_u32_e32 v3, vcc, s14, v3
	s_waitcnt vmcnt(2) lgkmcnt(1)
	v_mul_f32_e32 v0, v27, v38
	s_waitcnt lgkmcnt(0)
	v_mul_f32_e32 v7, v13, v40
	v_mul_f32_e32 v8, v19, v38
	;; [unrolled: 1-line block ×3, first 2 shown]
	s_waitcnt vmcnt(1)
	v_mul_f32_e32 v32, v23, v42
	v_mul_f32_e32 v33, v24, v44
	v_fma_f32 v0, v19, v37, -v0
	v_fma_f32 v19, v36, v39, -v7
	v_fmac_f32_e32 v8, v27, v37
	v_fmac_f32_e32 v9, v13, v39
	s_waitcnt vmcnt(0)
	v_mul_f32_e32 v27, v18, v46
	v_mul_f32_e32 v36, v17, v48
	;; [unrolled: 1-line block ×5, first 2 shown]
	v_fma_f32 v32, v15, v41, -v32
	v_fma_f32 v33, v16, v43, -v33
	v_add_f32_e32 v15, v8, v9
	v_add_f32_e32 v16, v22, v8
	v_fmac_f32_e32 v27, v26, v45
	v_fmac_f32_e32 v36, v25, v47
	v_mul_f32_e32 v13, v25, v48
	v_sub_f32_e32 v39, v8, v9
	v_fma_f32 v18, v18, v45, -v7
	v_fma_f32 v8, -0.5, v15, v22
	v_add_f32_e32 v15, v16, v9
	v_add_f32_e32 v9, v27, v36
	v_fmac_f32_e32 v38, v23, v41
	v_fmac_f32_e32 v40, v24, v43
	v_sub_f32_e32 v37, v0, v19
	v_add_f32_e32 v23, v0, v19
	v_add_f32_e32 v0, v14, v0
	v_fma_f32 v24, v17, v47, -v13
	v_add_f32_e32 v22, v21, v27
	v_sub_f32_e32 v43, v27, v36
	v_add_f32_e32 v27, v12, v18
	v_fma_f32 v21, -0.5, v9, v21
	v_fma_f32 v7, -0.5, v23, v14
	v_add_f32_e32 v14, v0, v19
	v_sub_f32_e32 v0, v18, v24
	v_add_f32_e32 v23, v22, v36
	v_add_f32_e32 v22, v27, v24
	v_mov_b32_e32 v27, v21
	v_fmac_f32_e32 v21, 0xbf5db3d7, v0
	v_fmac_f32_e32 v27, 0x3f5db3d7, v0
	v_mul_hi_u32 v0, v28, s2
	v_add_f32_e32 v13, v38, v40
	v_add_f32_e32 v42, v18, v24
	;; [unrolled: 1-line block ×3, first 2 shown]
	v_lshrrev_b32_e32 v0, 8, v0
	v_mul_u32_u24_e32 v0, 0x1c2, v0
	v_add_f32_e32 v25, v20, v38
	v_fma_f32 v17, -0.5, v13, v20
	v_fma_f32 v20, -0.5, v42, v12
	v_add_f32_e32 v12, v9, v33
	v_sub_u32_e32 v9, v28, v0
	v_mov_b32_e32 v0, s15
	v_addc_co_u32_e32 v4, vcc, v0, v4, vcc
	v_lshlrev_b64 v[0:1], 3, v[1:2]
	v_add_f32_e32 v26, v32, v33
	v_add_co_u32_e32 v2, vcc, v3, v0
	v_addc_co_u32_e32 v3, vcc, v4, v1, vcc
	v_lshlrev_b32_e32 v0, 3, v9
	v_add_u32_e32 v4, 0x87, v28
	v_add_co_u32_e32 v0, vcc, v2, v0
	v_mul_hi_u32 v9, v4, s2
	v_sub_f32_e32 v41, v32, v33
	v_sub_f32_e32 v38, v38, v40
	v_add_f32_e32 v13, v25, v40
	v_fma_f32 v16, -0.5, v26, v11
	v_addc_co_u32_e32 v1, vcc, 0, v3, vcc
	v_mov_b32_e32 v25, v17
	v_fmac_f32_e32 v17, 0xbf5db3d7, v41
	v_mov_b32_e32 v24, v16
	v_fmac_f32_e32 v16, 0x3f5db3d7, v38
	global_store_dwordx2 v[0:1], v[12:13], off
	global_store_dwordx2 v[0:1], v[16:17], off offset:3600
	v_add_co_u32_e32 v0, vcc, s4, v0
	v_fmac_f32_e32 v25, 0x3f5db3d7, v41
	v_fmac_f32_e32 v24, 0xbf5db3d7, v38
	v_addc_co_u32_e32 v1, vcc, 0, v1, vcc
	global_store_dwordx2 v[0:1], v[24:25], off offset:3104
	v_lshrrev_b32_e32 v0, 8, v9
	v_mul_u32_u24_e32 v1, 0x1c2, v0
	v_sub_u32_e32 v1, v4, v1
	s_movk_i32 s4, 0x546
	v_mad_u32_u24 v9, v0, s4, v1
	v_lshlrev_b64 v[0:1], 3, v[9:10]
	v_mov_b32_e32 v26, v20
	v_add_co_u32_e32 v0, vcc, v2, v0
	v_addc_co_u32_e32 v1, vcc, v3, v1, vcc
	global_store_dwordx2 v[0:1], v[22:23], off
	v_add_u32_e32 v0, 0x1c2, v9
	v_mov_b32_e32 v1, v10
	v_lshlrev_b64 v[0:1], 3, v[0:1]
	v_fmac_f32_e32 v20, 0x3f5db3d7, v43
	v_add_co_u32_e32 v0, vcc, v2, v0
	v_addc_co_u32_e32 v1, vcc, v3, v1, vcc
	v_add_u32_e32 v9, 0x384, v9
	v_add_u32_e32 v4, 0x10e, v28
	global_store_dwordx2 v[0:1], v[20:21], off
	v_lshlrev_b64 v[0:1], 3, v[9:10]
	v_mul_hi_u32 v9, v4, s2
	v_add_co_u32_e32 v0, vcc, v2, v0
	v_fmac_f32_e32 v26, 0xbf5db3d7, v43
	v_addc_co_u32_e32 v1, vcc, v3, v1, vcc
	global_store_dwordx2 v[0:1], v[26:27], off
	v_lshrrev_b32_e32 v0, 8, v9
	v_mul_u32_u24_e32 v1, 0x1c2, v0
	v_sub_u32_e32 v1, v4, v1
	v_mad_u32_u24 v9, v0, s4, v1
	v_lshlrev_b64 v[0:1], 3, v[9:10]
	v_mov_b32_e32 v19, v8
	v_add_co_u32_e32 v0, vcc, v2, v0
	v_addc_co_u32_e32 v1, vcc, v3, v1, vcc
	global_store_dwordx2 v[0:1], v[14:15], off
	v_add_u32_e32 v0, 0x1c2, v9
	v_mov_b32_e32 v1, v10
	v_lshlrev_b64 v[0:1], 3, v[0:1]
	v_fmac_f32_e32 v8, 0xbf5db3d7, v37
	v_add_co_u32_e32 v0, vcc, v2, v0
	v_mov_b32_e32 v18, v7
	v_fmac_f32_e32 v7, 0x3f5db3d7, v39
	v_addc_co_u32_e32 v1, vcc, v3, v1, vcc
	v_add_u32_e32 v9, 0x384, v9
	global_store_dwordx2 v[0:1], v[7:8], off
	v_lshlrev_b64 v[0:1], 3, v[9:10]
	v_fmac_f32_e32 v19, 0x3f5db3d7, v37
	v_add_co_u32_e32 v0, vcc, v2, v0
	v_fmac_f32_e32 v18, 0xbf5db3d7, v39
	v_addc_co_u32_e32 v1, vcc, v3, v1, vcc
	global_store_dwordx2 v[0:1], v[18:19], off
	v_add_u32_e32 v0, 0x195, v28
	v_cmp_gt_u32_e32 vcc, s3, v0
	s_and_b64 exec, exec, vcc
	s_cbranch_execz .LBB0_36
; %bb.35:
	v_subrev_u32_e32 v1, 45, v28
	v_cndmask_b32_e64 v1, v1, v29, s[0:1]
	v_lshlrev_b32_e32 v9, 1, v1
	v_lshlrev_b64 v[7:8], 3, v[9:10]
	v_mov_b32_e32 v1, s9
	v_add_co_u32_e32 v7, vcc, s8, v7
	v_addc_co_u32_e32 v8, vcc, v1, v8, vcc
	global_load_dwordx4 v[11:14], v[7:8], off offset:3560
	v_mov_b32_e32 v1, v10
	v_lshlrev_b64 v[0:1], 3, v[0:1]
	v_add_u32_e32 v9, 0x357, v28
	v_add_co_u32_e32 v0, vcc, v2, v0
	v_lshlrev_b64 v[7:8], 3, v[9:10]
	v_addc_co_u32_e32 v1, vcc, v3, v1, vcc
	v_add_u32_e32 v9, 0x519, v28
	v_lshlrev_b64 v[9:10], 3, v[9:10]
	v_add_co_u32_e32 v7, vcc, v2, v7
	v_addc_co_u32_e32 v8, vcc, v3, v8, vcc
	v_add_co_u32_e32 v2, vcc, v2, v9
	v_addc_co_u32_e32 v3, vcc, v3, v10, vcc
	s_waitcnt vmcnt(0)
	v_mul_f32_e32 v4, v35, v12
	v_mul_f32_e32 v9, v34, v12
	;; [unrolled: 1-line block ×4, first 2 shown]
	v_fma_f32 v4, v34, v11, -v4
	v_fmac_f32_e32 v9, v35, v11
	v_fma_f32 v10, v30, v13, -v10
	v_fmac_f32_e32 v12, v31, v13
	v_add_f32_e32 v13, v4, v10
	v_add_f32_e32 v16, v9, v12
	v_add_f32_e32 v11, v5, v4
	v_add_f32_e32 v15, v6, v9
	v_fmac_f32_e32 v5, -0.5, v13
	v_fmac_f32_e32 v6, -0.5, v16
	v_sub_f32_e32 v14, v9, v12
	v_sub_f32_e32 v4, v4, v10
	v_add_f32_e32 v9, v11, v10
	v_add_f32_e32 v10, v15, v12
	v_mov_b32_e32 v11, v5
	v_mov_b32_e32 v12, v6
	v_fmac_f32_e32 v11, 0x3f5db3d7, v14
	v_fmac_f32_e32 v12, 0xbf5db3d7, v4
	;; [unrolled: 1-line block ×4, first 2 shown]
	global_store_dwordx2 v[0:1], v[9:10], off
	global_store_dwordx2 v[7:8], v[11:12], off
	;; [unrolled: 1-line block ×3, first 2 shown]
.LBB0_36:
	s_endpgm
	.section	.rodata,"a",@progbits
	.p2align	6, 0x0
	.amdhsa_kernel fft_rtc_fwd_len1350_factors_5_10_3_3_3_wgs_135_tpt_135_halfLds_sp_op_CI_CI_unitstride_sbrr_dirReg
		.amdhsa_group_segment_fixed_size 0
		.amdhsa_private_segment_fixed_size 0
		.amdhsa_kernarg_size 104
		.amdhsa_user_sgpr_count 6
		.amdhsa_user_sgpr_private_segment_buffer 1
		.amdhsa_user_sgpr_dispatch_ptr 0
		.amdhsa_user_sgpr_queue_ptr 0
		.amdhsa_user_sgpr_kernarg_segment_ptr 1
		.amdhsa_user_sgpr_dispatch_id 0
		.amdhsa_user_sgpr_flat_scratch_init 0
		.amdhsa_user_sgpr_private_segment_size 0
		.amdhsa_uses_dynamic_stack 0
		.amdhsa_system_sgpr_private_segment_wavefront_offset 0
		.amdhsa_system_sgpr_workgroup_id_x 1
		.amdhsa_system_sgpr_workgroup_id_y 0
		.amdhsa_system_sgpr_workgroup_id_z 0
		.amdhsa_system_sgpr_workgroup_info 0
		.amdhsa_system_vgpr_workitem_id 0
		.amdhsa_next_free_vgpr 66
		.amdhsa_next_free_sgpr 28
		.amdhsa_reserve_vcc 1
		.amdhsa_reserve_flat_scratch 0
		.amdhsa_float_round_mode_32 0
		.amdhsa_float_round_mode_16_64 0
		.amdhsa_float_denorm_mode_32 3
		.amdhsa_float_denorm_mode_16_64 3
		.amdhsa_dx10_clamp 1
		.amdhsa_ieee_mode 1
		.amdhsa_fp16_overflow 0
		.amdhsa_exception_fp_ieee_invalid_op 0
		.amdhsa_exception_fp_denorm_src 0
		.amdhsa_exception_fp_ieee_div_zero 0
		.amdhsa_exception_fp_ieee_overflow 0
		.amdhsa_exception_fp_ieee_underflow 0
		.amdhsa_exception_fp_ieee_inexact 0
		.amdhsa_exception_int_div_zero 0
	.end_amdhsa_kernel
	.text
.Lfunc_end0:
	.size	fft_rtc_fwd_len1350_factors_5_10_3_3_3_wgs_135_tpt_135_halfLds_sp_op_CI_CI_unitstride_sbrr_dirReg, .Lfunc_end0-fft_rtc_fwd_len1350_factors_5_10_3_3_3_wgs_135_tpt_135_halfLds_sp_op_CI_CI_unitstride_sbrr_dirReg
                                        ; -- End function
	.section	.AMDGPU.csdata,"",@progbits
; Kernel info:
; codeLenInByte = 7400
; NumSgprs: 32
; NumVgprs: 66
; ScratchSize: 0
; MemoryBound: 0
; FloatMode: 240
; IeeeMode: 1
; LDSByteSize: 0 bytes/workgroup (compile time only)
; SGPRBlocks: 3
; VGPRBlocks: 16
; NumSGPRsForWavesPerEU: 32
; NumVGPRsForWavesPerEU: 66
; Occupancy: 3
; WaveLimiterHint : 1
; COMPUTE_PGM_RSRC2:SCRATCH_EN: 0
; COMPUTE_PGM_RSRC2:USER_SGPR: 6
; COMPUTE_PGM_RSRC2:TRAP_HANDLER: 0
; COMPUTE_PGM_RSRC2:TGID_X_EN: 1
; COMPUTE_PGM_RSRC2:TGID_Y_EN: 0
; COMPUTE_PGM_RSRC2:TGID_Z_EN: 0
; COMPUTE_PGM_RSRC2:TIDIG_COMP_CNT: 0
	.type	__hip_cuid_d22f02377aeb127d,@object ; @__hip_cuid_d22f02377aeb127d
	.section	.bss,"aw",@nobits
	.globl	__hip_cuid_d22f02377aeb127d
__hip_cuid_d22f02377aeb127d:
	.byte	0                               ; 0x0
	.size	__hip_cuid_d22f02377aeb127d, 1

	.ident	"AMD clang version 19.0.0git (https://github.com/RadeonOpenCompute/llvm-project roc-6.4.0 25133 c7fe45cf4b819c5991fe208aaa96edf142730f1d)"
	.section	".note.GNU-stack","",@progbits
	.addrsig
	.addrsig_sym __hip_cuid_d22f02377aeb127d
	.amdgpu_metadata
---
amdhsa.kernels:
  - .args:
      - .actual_access:  read_only
        .address_space:  global
        .offset:         0
        .size:           8
        .value_kind:     global_buffer
      - .offset:         8
        .size:           8
        .value_kind:     by_value
      - .actual_access:  read_only
        .address_space:  global
        .offset:         16
        .size:           8
        .value_kind:     global_buffer
      - .actual_access:  read_only
        .address_space:  global
        .offset:         24
        .size:           8
        .value_kind:     global_buffer
      - .actual_access:  read_only
        .address_space:  global
        .offset:         32
        .size:           8
        .value_kind:     global_buffer
      - .offset:         40
        .size:           8
        .value_kind:     by_value
      - .actual_access:  read_only
        .address_space:  global
        .offset:         48
        .size:           8
        .value_kind:     global_buffer
      - .actual_access:  read_only
        .address_space:  global
        .offset:         56
        .size:           8
        .value_kind:     global_buffer
      - .offset:         64
        .size:           4
        .value_kind:     by_value
      - .actual_access:  read_only
        .address_space:  global
        .offset:         72
        .size:           8
        .value_kind:     global_buffer
      - .actual_access:  read_only
        .address_space:  global
        .offset:         80
        .size:           8
        .value_kind:     global_buffer
      - .actual_access:  read_only
        .address_space:  global
        .offset:         88
        .size:           8
        .value_kind:     global_buffer
      - .actual_access:  write_only
        .address_space:  global
        .offset:         96
        .size:           8
        .value_kind:     global_buffer
    .group_segment_fixed_size: 0
    .kernarg_segment_align: 8
    .kernarg_segment_size: 104
    .language:       OpenCL C
    .language_version:
      - 2
      - 0
    .max_flat_workgroup_size: 135
    .name:           fft_rtc_fwd_len1350_factors_5_10_3_3_3_wgs_135_tpt_135_halfLds_sp_op_CI_CI_unitstride_sbrr_dirReg
    .private_segment_fixed_size: 0
    .sgpr_count:     32
    .sgpr_spill_count: 0
    .symbol:         fft_rtc_fwd_len1350_factors_5_10_3_3_3_wgs_135_tpt_135_halfLds_sp_op_CI_CI_unitstride_sbrr_dirReg.kd
    .uniform_work_group_size: 1
    .uses_dynamic_stack: false
    .vgpr_count:     66
    .vgpr_spill_count: 0
    .wavefront_size: 64
amdhsa.target:   amdgcn-amd-amdhsa--gfx906
amdhsa.version:
  - 1
  - 2
...

	.end_amdgpu_metadata
